;; amdgpu-corpus repo=ROCm/rocFFT kind=compiled arch=gfx950 opt=O3
	.text
	.amdgcn_target "amdgcn-amd-amdhsa--gfx950"
	.amdhsa_code_object_version 6
	.protected	r2c_even_post_transpose_tile16x16_dp_CI_CI_grid1D ; -- Begin function r2c_even_post_transpose_tile16x16_dp_CI_CI_grid1D
	.globl	r2c_even_post_transpose_tile16x16_dp_CI_CI_grid1D
	.p2align	8
	.type	r2c_even_post_transpose_tile16x16_dp_CI_CI_grid1D,@function
r2c_even_post_transpose_tile16x16_dp_CI_CI_grid1D: ; @r2c_even_post_transpose_tile16x16_dp_CI_CI_grid1D
; %bb.0:
	s_load_dwordx2 s[6:7], s[0:1], 0x70
	s_load_dwordx2 s[12:13], s[0:1], 0x0
	;; [unrolled: 1-line block ×3, first 2 shown]
	s_mov_b32 s15, 0
	s_waitcnt lgkmcnt(0)
	s_mul_i32 s3, s7, s6
	v_cvt_f32_u32_e32 v1, s3
	v_cvt_f32_u32_e32 v2, s7
	s_sub_i32 s6, 0, s3
	v_rcp_iflag_f32_e32 v1, v1
	v_rcp_iflag_f32_e32 v2, v2
	v_mul_f32_e32 v1, 0x4f7ffffe, v1
	v_cvt_u32_f32_e32 v1, v1
	v_mul_f32_e32 v2, 0x4f7ffffe, v2
	v_cvt_u32_f32_e32 v2, v2
	v_readfirstlane_b32 s8, v1
	s_mul_i32 s6, s6, s8
	s_mul_hi_u32 s6, s8, s6
	s_add_i32 s8, s8, s6
	s_mul_hi_u32 s6, s2, s8
	s_mul_i32 s8, s6, s3
	s_sub_i32 s8, s2, s8
	s_add_i32 s9, s6, 1
	s_sub_i32 s10, s8, s3
	s_cmp_ge_u32 s8, s3
	s_cselect_b32 s6, s9, s6
	s_cselect_b32 s8, s10, s8
	s_add_i32 s9, s6, 1
	s_cmp_ge_u32 s8, s3
	s_cselect_b32 s6, s9, s6
	s_sub_i32 s8, 0, s7
	s_mul_i32 s9, s6, s3
	v_readfirstlane_b32 s22, v2
	s_sub_i32 s14, s2, s9
	s_mul_i32 s16, s8, s22
	s_load_dwordx4 s[8:11], s[4:5], 0x0
	s_mul_hi_u32 s16, s22, s16
	s_add_i32 s22, s22, s16
	s_mul_hi_u32 s20, s14, s22
	s_cmp_eq_u64 s[12:13], 2
	s_waitcnt lgkmcnt(0)
	s_mov_b64 s[16:17], s[10:11]
	s_cbranch_scc1 .LBB0_2
; %bb.1:
	s_load_dwordx2 s[4:5], s[4:5], 0x10
	s_waitcnt lgkmcnt(0)
	s_mul_i32 s16, s4, s11
	s_mul_hi_u32 s17, s4, s10
	s_mul_i32 s5, s5, s10
	s_add_i32 s16, s17, s16
	s_add_i32 s17, s16, s5
	s_mul_i32 s16, s4, s10
.LBB0_2:
	s_mul_i32 s4, s20, s7
	s_sub_i32 s4, s14, s4
	s_add_i32 s5, s20, 1
	s_sub_i32 s14, s4, s7
	s_cmp_ge_u32 s4, s7
	s_cselect_b32 s5, s5, s20
	s_cselect_b32 s4, s14, s4
	s_add_i32 s14, s5, 1
	s_cmp_ge_u32 s4, s7
	s_load_dwordx2 s[18:19], s[0:1], 0x38
	s_cselect_b32 s4, s14, s5
	s_lshl_b32 s14, s4, 4
	v_bfe_u32 v2, v0, 10, 10
	v_mov_b32_e32 v3, 0
	v_lshl_add_u64 v[4:5], s[14:15], 0, v[2:3]
	v_or_b32_e32 v7, s11, v5
	v_mov_b32_e32 v6, v3
	v_cmp_ne_u64_e32 vcc, 0, v[6:7]
                                        ; implicit-def: $vgpr6_vgpr7
	s_and_saveexec_b64 s[4:5], vcc
	s_xor_b64 s[20:21], exec, s[4:5]
	s_cbranch_execz .LBB0_4
; %bb.3:
	v_cvt_f32_u32_e32 v1, s10
	v_cvt_f32_u32_e32 v6, s11
	s_sub_u32 s4, 0, s10
	s_subb_u32 s5, 0, s11
	v_fmamk_f32 v1, v6, 0x4f800000, v1
	v_rcp_f32_e32 v1, v1
	s_nop 0
	v_mul_f32_e32 v1, 0x5f7ffffc, v1
	v_mul_f32_e32 v6, 0x2f800000, v1
	v_trunc_f32_e32 v6, v6
	v_fmamk_f32 v1, v6, 0xcf800000, v1
	v_cvt_u32_f32_e32 v10, v6
	v_cvt_u32_f32_e32 v1, v1
	v_mul_lo_u32 v6, s4, v10
	v_mul_hi_u32 v8, s4, v1
	v_mul_lo_u32 v7, s5, v1
	v_add_u32_e32 v8, v8, v6
	v_mul_lo_u32 v11, s4, v1
	v_add_u32_e32 v12, v8, v7
	v_mul_hi_u32 v6, v1, v11
	v_mul_hi_u32 v9, v1, v12
	v_mul_lo_u32 v8, v1, v12
	v_mov_b32_e32 v7, v3
	v_lshl_add_u64 v[6:7], v[6:7], 0, v[8:9]
	v_mul_hi_u32 v9, v10, v11
	v_mul_lo_u32 v11, v10, v11
	v_add_co_u32_e32 v6, vcc, v6, v11
	v_mul_hi_u32 v8, v10, v12
	s_nop 0
	v_addc_co_u32_e32 v6, vcc, v7, v9, vcc
	v_mov_b32_e32 v7, v3
	s_nop 0
	v_addc_co_u32_e32 v9, vcc, 0, v8, vcc
	v_mul_lo_u32 v8, v10, v12
	v_lshl_add_u64 v[6:7], v[6:7], 0, v[8:9]
	v_add_co_u32_e32 v1, vcc, v1, v6
	v_mul_lo_u32 v8, s4, v1
	s_nop 0
	v_addc_co_u32_e32 v10, vcc, v10, v7, vcc
	v_mul_lo_u32 v6, s4, v10
	v_mul_hi_u32 v7, s4, v1
	v_add_u32_e32 v6, v7, v6
	v_mul_lo_u32 v7, s5, v1
	v_add_u32_e32 v11, v6, v7
	v_mul_hi_u32 v13, v10, v8
	v_mul_lo_u32 v14, v10, v8
	v_mul_hi_u32 v7, v1, v11
	v_mul_lo_u32 v6, v1, v11
	v_mul_hi_u32 v8, v1, v8
	v_mov_b32_e32 v9, v3
	v_lshl_add_u64 v[6:7], v[8:9], 0, v[6:7]
	v_add_co_u32_e32 v6, vcc, v6, v14
	v_mul_hi_u32 v12, v10, v11
	s_nop 0
	v_addc_co_u32_e32 v6, vcc, v7, v13, vcc
	v_mul_lo_u32 v8, v10, v11
	s_nop 0
	v_addc_co_u32_e32 v9, vcc, 0, v12, vcc
	v_mov_b32_e32 v7, v3
	v_lshl_add_u64 v[6:7], v[6:7], 0, v[8:9]
	v_add_co_u32_e32 v1, vcc, v1, v6
	v_mul_hi_u32 v8, v4, v1
	s_nop 0
	v_addc_co_u32_e32 v10, vcc, v10, v7, vcc
	v_mad_u64_u32 v[6:7], s[4:5], v4, v10, 0
	v_mov_b32_e32 v9, v3
	v_lshl_add_u64 v[6:7], v[8:9], 0, v[6:7]
	v_mad_u64_u32 v[8:9], s[4:5], v5, v10, 0
	v_mad_u64_u32 v[10:11], s[4:5], v5, v1, 0
	v_add_co_u32_e32 v1, vcc, v6, v10
	s_nop 1
	v_addc_co_u32_e32 v6, vcc, v7, v11, vcc
	v_mov_b32_e32 v7, v3
	s_nop 0
	v_addc_co_u32_e32 v9, vcc, 0, v9, vcc
	v_lshl_add_u64 v[6:7], v[6:7], 0, v[8:9]
	v_mul_lo_u32 v1, s11, v6
	v_mul_lo_u32 v3, s10, v7
	v_mad_u64_u32 v[8:9], s[4:5], s10, v6, 0
	v_add3_u32 v1, v9, v3, v1
	v_sub_u32_e32 v3, v5, v1
	v_mov_b32_e32 v9, s11
	v_sub_co_u32_e32 v12, vcc, v4, v8
	v_lshl_add_u64 v[10:11], v[6:7], 0, 1
	s_nop 0
	v_subb_co_u32_e64 v3, s[4:5], v3, v9, vcc
	v_subrev_co_u32_e64 v8, s[4:5], s10, v12
	v_subb_co_u32_e32 v1, vcc, v5, v1, vcc
	s_nop 0
	v_subbrev_co_u32_e64 v3, s[4:5], 0, v3, s[4:5]
	v_cmp_le_u32_e64 s[4:5], s11, v3
	v_cmp_le_u32_e32 vcc, s11, v1
	s_nop 0
	v_cndmask_b32_e64 v9, 0, -1, s[4:5]
	v_cmp_le_u32_e64 s[4:5], s10, v8
	s_nop 1
	v_cndmask_b32_e64 v8, 0, -1, s[4:5]
	v_cmp_eq_u32_e64 s[4:5], s11, v3
	s_nop 1
	v_cndmask_b32_e64 v3, v9, v8, s[4:5]
	v_lshl_add_u64 v[8:9], v[6:7], 0, 2
	v_cmp_ne_u32_e64 s[4:5], 0, v3
	s_nop 1
	v_cndmask_b32_e64 v3, v11, v9, s[4:5]
	v_cndmask_b32_e64 v9, 0, -1, vcc
	v_cmp_le_u32_e32 vcc, s10, v12
	s_nop 1
	v_cndmask_b32_e64 v11, 0, -1, vcc
	v_cmp_eq_u32_e32 vcc, s11, v1
	s_nop 1
	v_cndmask_b32_e32 v1, v9, v11, vcc
	v_cmp_ne_u32_e32 vcc, 0, v1
	v_cndmask_b32_e64 v1, v10, v8, s[4:5]
	s_nop 0
	v_cndmask_b32_e32 v7, v7, v3, vcc
	v_cndmask_b32_e32 v6, v6, v1, vcc
.LBB0_4:
	s_or_saveexec_b64 s[4:5], s[20:21]
	s_mul_hi_u32 s26, s2, s22
	s_xor_b64 exec, exec, s[4:5]
	s_cbranch_execz .LBB0_6
; %bb.5:
	v_cvt_f32_u32_e32 v1, s10
	s_sub_i32 s20, 0, s10
	v_rcp_iflag_f32_e32 v1, v1
	s_nop 0
	v_mul_f32_e32 v1, 0x4f7ffffe, v1
	v_cvt_u32_f32_e32 v1, v1
	v_mul_lo_u32 v3, s20, v1
	v_mul_hi_u32 v3, v1, v3
	v_add_u32_e32 v1, v1, v3
	v_mul_hi_u32 v1, v4, v1
	v_mul_lo_u32 v3, v1, s10
	v_sub_u32_e32 v3, v4, v3
	v_add_u32_e32 v6, 1, v1
	v_subrev_u32_e32 v7, s10, v3
	v_cmp_le_u32_e32 vcc, s10, v3
	s_nop 1
	v_cndmask_b32_e32 v3, v3, v7, vcc
	v_cndmask_b32_e32 v1, v1, v6, vcc
	v_add_u32_e32 v6, 1, v1
	v_cmp_le_u32_e32 vcc, s10, v3
	v_mov_b32_e32 v7, 0
	s_nop 0
	v_cndmask_b32_e32 v6, v1, v6, vcc
.LBB0_6:
	s_or_b64 exec, exec, s[4:5]
	v_mad_u64_u32 v[8:9], s[4:5], v6, s10, 0
	s_waitcnt lgkmcnt(0)
	s_load_dwordx2 s[4:5], s[18:19], 0x8
	v_mul_lo_u32 v1, v7, s10
	v_mul_lo_u32 v3, v6, s11
	s_load_dwordx2 s[28:29], s[0:1], 0x8
	v_add3_u32 v1, v9, v3, v1
	v_sub_co_u32_e32 v3, vcc, v4, v8
	s_waitcnt lgkmcnt(0)
	v_mul_lo_u32 v10, s5, v3
	v_subb_co_u32_e32 v1, vcc, v5, v1, vcc
	v_mul_lo_u32 v1, s4, v1
	v_mad_u64_u32 v[8:9], s[4:5], s4, v3, 0
	v_cmp_lt_u64_e64 s[4:5], s[12:13], 3
	v_add3_u32 v9, v9, v1, v10
	s_and_b64 vcc, exec, s[4:5]
	s_cbranch_vccnz .LBB0_8
; %bb.7:
	s_load_dwordx2 s[4:5], s[18:19], 0x10
	s_waitcnt lgkmcnt(0)
	v_mad_u64_u32 v[8:9], s[10:11], s4, v6, v[8:9]
	v_mul_lo_u32 v1, s4, v7
	v_mul_lo_u32 v3, s5, v6
	v_add3_u32 v9, v3, v9, v1
.LBB0_8:
	s_add_u32 s4, s8, -1
	s_addc_u32 s5, s9, -1
	v_cmp_lt_u64_e64 s[10:11], s[4:5], 32
	s_lshr_b64 s[4:5], s[4:5], 1
	s_and_b64 s[10:11], s[10:11], exec
	s_cselect_b32 s22, s5, 0
	s_cselect_b32 s27, s4, 16
	s_mul_i32 s4, s22, s6
	s_mul_hi_u32 s5, s27, s6
	s_add_i32 s21, s5, s4
	s_mul_i32 s20, s27, s6
	s_add_u32 s18, s20, 1
	s_addc_u32 s19, s21, 0
	s_add_u32 s4, s8, 1
	s_addc_u32 s5, s9, 0
	s_lshr_b64 s[24:25], s[4:5], 1
	s_add_u32 s4, s14, 16
	s_addc_u32 s5, 0, 0
	v_mov_b64_e32 v[6:7], s[16:17]
	v_cmp_lt_u64_e32 vcc, s[4:5], v[6:7]
	s_and_b64 s[10:11], vcc, exec
	s_cselect_b32 s5, s5, s17
	s_cselect_b32 s4, s4, s16
	s_add_u32 s10, s18, s27
	s_addc_u32 s11, s19, s22
	v_mov_b64_e32 v[6:7], s[24:25]
	s_sub_u32 s6, s24, s18
	v_cmp_lt_u64_e32 vcc, s[10:11], v[6:7]
	s_subb_u32 s16, s25, s19
	s_and_b64 s[10:11], vcc, exec
	s_mul_i32 s26, s26, s7
	s_cselect_b32 s23, s22, s16
	s_cselect_b32 s22, s27, s6
	s_sub_i32 s6, s2, s26
	s_sub_i32 s16, s6, s7
	s_load_dwordx2 s[10:11], s[0:1], 0x10
	s_cmp_ge_u32 s6, s7
	s_cselect_b32 s6, s16, s6
	s_sub_i32 s16, s6, s7
	s_cmp_ge_u32 s6, s7
	s_cselect_b32 s33, s16, s6
	v_and_b32_e32 v14, 0x3ff, v0
	v_mov_b32_e32 v15, 0
	s_waitcnt lgkmcnt(0)
	s_mul_i32 s6, s33, s11
	s_mul_hi_u32 s7, s33, s10
	s_add_i32 s35, s7, s6
	v_cmp_gt_u64_e64 s[6:7], s[4:5], v[4:5]
	v_cmp_gt_u64_e32 vcc, s[22:23], v[14:15]
	s_mul_i32 s34, s33, s10
	s_and_b64 s[26:27], s[6:7], vcc
	v_lshlrev_b32_e32 v12, 4, v2
	s_and_saveexec_b64 s[4:5], s[26:27]
	s_cbranch_execz .LBB0_10
; %bb.9:
	s_lshl_b64 s[10:11], s[34:35], 4
	s_add_u32 s10, s10, s28
	s_addc_u32 s11, s11, s29
	v_lshl_add_u64 v[0:1], v[8:9], 4, s[10:11]
	s_add_u32 s10, s20, s22
	s_addc_u32 s11, s21, s23
	s_sub_u32 s10, s8, s10
	v_lshl_add_u64 v[2:3], s[20:21], 4, v[0:1]
	v_lshlrev_b64 v[4:5], 4, v[14:15]
	s_subb_u32 s11, s9, s11
	v_lshl_add_u64 v[10:11], v[2:3], 0, v[4:5]
	v_lshl_add_u64 v[0:1], s[10:11], 4, v[0:1]
	;; [unrolled: 1-line block ×3, first 2 shown]
	global_load_dwordx4 v[0:3], v[10:11], off offset:16
	global_load_dwordx4 v[4:7], v[16:17], off
	v_lshl_add_u32 v10, v14, 8, v12
	s_waitcnt vmcnt(1)
	ds_write_b128 v10, v[0:3]
	s_waitcnt vmcnt(0)
	ds_write_b128 v10, v[4:7] offset:4096
.LBB0_10:
	s_or_b64 exec, exec, s[4:5]
	s_load_dwordx2 s[16:17], s[0:1], 0x40
	s_load_dwordx2 s[10:11], s[0:1], 0x18
	s_cmp_gt_u32 s3, s2
	s_cselect_b64 s[30:31], -1, 0
	v_cmp_eq_u32_e64 s[4:5], 0, v14
	s_and_b64 s[36:37], s[4:5], s[30:31]
                                        ; implicit-def: $vgpr0_vgpr1
                                        ; implicit-def: $vgpr4_vgpr5
	s_and_saveexec_b64 s[2:3], s[36:37]
	s_cbranch_execz .LBB0_16
; %bb.11:
                                        ; implicit-def: $vgpr6_vgpr7
                                        ; implicit-def: $vgpr2_vgpr3
	s_and_saveexec_b64 s[36:37], s[6:7]
	s_cbranch_execz .LBB0_15
; %bb.12:
	s_lshl_b64 s[34:35], s[34:35], 4
	s_add_u32 s28, s34, s28
	s_addc_u32 s29, s35, s29
	v_lshl_add_u64 v[0:1], v[8:9], 4, s[28:29]
	global_load_dwordx4 v[4:7], v[0:1], off
	s_bitcmp1_b32 s8, 0
	s_cselect_b64 s[28:29], -1, 0
	s_and_b64 vcc, exec, s[28:29]
	s_cbranch_vccnz .LBB0_14
; %bb.13:
	v_lshl_add_u64 v[0:1], s[8:9], 3, v[0:1]
	global_load_dwordx4 v[0:3], v[0:1], off
	s_branch .LBB0_15
.LBB0_14:
                                        ; implicit-def: $vgpr2_vgpr3
.LBB0_15:
	s_or_b64 exec, exec, s[36:37]
.LBB0_16:
	s_or_b64 exec, exec, s[2:3]
	s_load_dwordx4 s[0:3], s[0:1], 0x20
	s_and_b64 s[4:5], s[4:5], s[6:7]
	s_and_b64 s[6:7], s[30:31], s[4:5]
	s_waitcnt lgkmcnt(0)
	s_barrier
	s_mul_i32 s1, s33, s1
	s_mul_hi_u32 s23, s33, s0
	s_mul_i32 s0, s33, s0
	s_add_i32 s1, s23, s1
	s_and_saveexec_b64 s[4:5], s[6:7]
	s_cbranch_execz .LBB0_29
; %bb.17:
	v_cmp_lt_i64_e64 s[6:7], s[12:13], 3
	s_and_b64 vcc, exec, s[6:7]
	s_cbranch_vccnz .LBB0_42
; %bb.18:
	s_mov_b64 s[28:29], 0
	s_cmp_eq_u64 s[12:13], 3
	s_mov_b64 s[34:35], 0
                                        ; implicit-def: $sgpr30_sgpr31
	s_cbranch_scc1 .LBB0_45
; %bb.19:
	s_and_b64 vcc, exec, s[28:29]
	s_cbranch_vccnz .LBB0_46
.LBB0_20:
	s_andn2_b64 vcc, exec, s[34:35]
	s_cbranch_vccnz .LBB0_22
.LBB0_21:
	s_add_u32 s28, s16, s30
	s_addc_u32 s29, s17, s31
	s_load_dwordx2 s[28:29], s[28:29], 0x0
	s_waitcnt lgkmcnt(0)
	s_mul_i32 s23, s28, s9
	s_mul_hi_u32 s30, s28, s8
	s_mul_i32 s29, s29, s8
	s_add_i32 s23, s30, s23
	s_add_i32 s23, s23, s29
	s_mul_i32 s28, s28, s8
	s_add_u32 s28, s28, s0
	s_addc_u32 s29, s23, s1
.LBB0_22:
	s_lshl_b64 s[28:29], s[28:29], 4
	s_add_u32 s23, s10, s28
	s_addc_u32 s31, s11, s29
	s_lshl_b64 s[28:29], s[14:15], 4
	s_add_u32 s30, s23, s28
	v_mov_b32_e32 v10, 0
	s_waitcnt vmcnt(0)
	v_add_f64 v[8:9], v[4:5], -v[6:7]
	s_addc_u32 s31, s31, s29
	v_mov_b32_e32 v11, v10
	global_store_dwordx4 v12, v[8:11], s[30:31]
	s_and_b32 s30, s12, -2
	s_mov_b32 s31, s13
	s_cmp_eq_u64 s[30:31], 2
	s_cselect_b32 s31, s1, 0
	s_cselect_b32 s30, s0, 0
	s_lshl_b64 s[30:31], s[30:31], 4
	s_add_u32 s23, s10, s30
	s_addc_u32 s31, s11, s31
	s_add_u32 s30, s23, s28
	s_addc_u32 s31, s31, s29
	v_add_f64 v[8:9], v[4:5], v[6:7]
	s_bitcmp1_b32 s8, 0
	global_store_dwordx4 v12, v[8:11], s[30:31]
	s_cselect_b64 s[30:31], -1, 0
	s_and_b64 vcc, exec, s[30:31]
	s_cbranch_vccnz .LBB0_29
; %bb.23:
	s_and_b64 vcc, exec, s[6:7]
	s_cbranch_vccnz .LBB0_47
; %bb.24:
	s_mov_b64 s[6:7], 0
	s_cmp_eq_u64 s[12:13], 3
	s_mov_b64 s[34:35], 0
                                        ; implicit-def: $sgpr30_sgpr31
	s_cbranch_scc1 .LBB0_52
; %bb.25:
	s_and_b64 vcc, exec, s[6:7]
	s_cbranch_vccnz .LBB0_53
.LBB0_26:
	s_andn2_b64 vcc, exec, s[34:35]
	s_cbranch_vccnz .LBB0_28
.LBB0_27:
	s_add_u32 s6, s16, s30
	s_addc_u32 s7, s17, s31
	s_load_dwordx2 s[6:7], s[6:7], 0x0
	s_waitcnt lgkmcnt(0)
	s_mul_i32 s23, s6, s25
	s_mul_hi_u32 s25, s6, s24
	s_mul_i32 s7, s7, s24
	s_add_i32 s23, s25, s23
	s_add_i32 s23, s23, s7
	s_mul_i32 s6, s6, s24
	s_add_u32 s6, s6, s0
	s_addc_u32 s7, s23, s1
.LBB0_28:
	s_lshl_b64 s[6:7], s[6:7], 4
	s_add_u32 s6, s10, s6
	s_addc_u32 s7, s11, s7
	s_add_u32 s6, s6, s28
	v_xor_b32_e32 v3, 0x80000000, v3
	s_addc_u32 s7, s7, s29
	global_store_dwordx4 v12, v[0:3], s[6:7]
.LBB0_29:
	s_or_b64 exec, exec, s[4:5]
	s_and_saveexec_b64 s[4:5], s[26:27]
	s_cbranch_execz .LBB0_41
; %bb.30:
	s_waitcnt vmcnt(0)
	v_lshl_add_u64 v[0:1], s[20:21], 0, v[14:15]
	v_lshl_add_u64 v[0:1], v[0:1], 4, s[2:3]
	global_load_dwordx4 v[0:3], v[0:1], off offset:16
	v_xad_u32 v5, v14, -1, s22
	v_lshl_add_u32 v4, v14, 8, v12
	v_lshl_add_u32 v8, v5, 8, v12
	ds_read_b128 v[4:7], v4
	ds_read_b128 v[8:11], v8 offset:4096
	v_cmp_lt_i64_e64 s[2:3], s[12:13], 3
	s_and_b64 vcc, exec, s[2:3]
	s_cbranch_vccnz .LBB0_43
; %bb.31:
	s_mov_b64 s[4:5], 0
	s_cmp_eq_u64 s[12:13], 3
	s_mov_b64 s[20:21], 0
                                        ; implicit-def: $sgpr6_sgpr7
	s_cbranch_scc1 .LBB0_48
; %bb.32:
	s_and_b64 vcc, exec, s[4:5]
	s_cbranch_vccnz .LBB0_49
.LBB0_33:
	v_lshl_add_u64 v[14:15], s[18:19], 0, v[14:15]
	s_andn2_b64 vcc, exec, s[20:21]
	v_mov_b64_e32 v[18:19], s[4:5]
	s_cbranch_vccnz .LBB0_35
.LBB0_34:
	s_add_u32 s4, s16, s6
	s_addc_u32 s5, s17, s7
	s_load_dwordx2 s[4:5], s[4:5], 0x0
	v_mov_b64_e32 v[16:17], s[0:1]
	s_waitcnt lgkmcnt(0)
	v_mul_lo_u32 v13, s4, v15
	v_mul_lo_u32 v20, s5, v14
	v_mad_u64_u32 v[18:19], s[4:5], s4, v14, v[16:17]
	v_add3_u32 v19, v20, v19, v13
.LBB0_35:
	s_waitcnt lgkmcnt(0)
	v_add_f64 v[20:21], v[4:5], v[8:9]
	v_add_f64 v[4:5], v[4:5], -v[8:9]
	v_add_f64 v[22:23], v[6:7], v[10:11]
	v_mul_f64 v[24:25], v[4:5], 0.5
	v_mul_f64 v[22:23], v[22:23], 0.5
	v_add_f64 v[10:11], v[6:7], -v[10:11]
	s_waitcnt vmcnt(0)
	v_mul_f64 v[6:7], v[24:25], v[2:3]
	s_lshl_b64 s[4:5], s[14:15], 4
	v_mul_f64 v[16:17], v[20:21], 0.5
	v_fma_f64 v[20:21], 0.5, v[20:21], v[6:7]
	v_mul_f64 v[2:3], v[22:23], v[2:3]
	s_add_u32 s6, s4, s10
	v_mul_f64 v[8:9], v[0:1], v[22:23]
	v_fmac_f64_e32 v[20:21], v[0:1], v[22:23]
	v_fma_f64 v[22:23], 0.5, v[10:11], v[2:3]
	s_addc_u32 s7, s5, s11
	v_mul_f64 v[4:5], v[10:11], 0.5
	v_mul_f64 v[10:11], v[24:25], v[0:1]
	v_fma_f64 v[22:23], -v[24:25], v[0:1], v[22:23]
	v_lshl_add_u64 v[0:1], v[18:19], 4, s[6:7]
	v_mov_b32_e32 v13, 0
	v_lshl_add_u64 v[0:1], v[0:1], 0, v[12:13]
	s_and_b64 vcc, exec, s[2:3]
	global_store_dwordx4 v[0:1], v[20:23], off
	s_cbranch_vccnz .LBB0_44
; %bb.36:
	s_mov_b64 s[6:7], 0
	s_cmp_eq_u64 s[12:13], 3
	s_mov_b64 s[14:15], 0
                                        ; implicit-def: $sgpr2_sgpr3
	s_cbranch_scc1 .LBB0_50
; %bb.37:
	s_and_b64 vcc, exec, s[6:7]
	s_cbranch_vccnz .LBB0_51
.LBB0_38:
	s_andn2_b64 vcc, exec, s[14:15]
	v_mov_b64_e32 v[0:1], s[6:7]
	s_cbranch_vccnz .LBB0_40
.LBB0_39:
	s_add_u32 s2, s16, s2
	s_addc_u32 s3, s17, s3
	s_load_dwordx2 s[2:3], s[2:3], 0x0
	v_mov_b32_e32 v0, s9
	v_sub_co_u32_e32 v13, vcc, s8, v14
	s_nop 1
	v_subb_co_u32_e32 v0, vcc, v0, v15, vcc
	s_waitcnt lgkmcnt(0)
	v_mul_lo_u32 v14, s2, v0
	v_mov_b64_e32 v[0:1], s[0:1]
	v_mul_lo_u32 v15, s3, v13
	v_mad_u64_u32 v[0:1], s[0:1], s2, v13, v[0:1]
	v_add3_u32 v1, v15, v1, v14
.LBB0_40:
	s_add_u32 s0, s4, s10
	s_addc_u32 s1, s5, s11
	v_add_f64 v[6:7], v[16:17], -v[6:7]
	v_add_f64 v[2:3], v[2:3], -v[4:5]
	v_lshl_add_u64 v[0:1], v[0:1], 4, s[0:1]
	v_mov_b32_e32 v13, 0
	v_add_f64 v[6:7], v[6:7], -v[8:9]
	v_add_f64 v[8:9], v[2:3], -v[10:11]
	v_lshl_add_u64 v[0:1], v[0:1], 0, v[12:13]
	global_store_dwordx4 v[0:1], v[6:9], off
.LBB0_41:
	s_endpgm
.LBB0_42:
	s_mov_b64 s[28:29], -1
	s_mov_b64 s[34:35], 0
                                        ; implicit-def: $sgpr30_sgpr31
	s_cbranch_execz .LBB0_20
	s_branch .LBB0_46
.LBB0_43:
	s_mov_b64 s[4:5], -1
	s_mov_b64 s[20:21], 0
                                        ; implicit-def: $sgpr6_sgpr7
	s_cbranch_execz .LBB0_33
	s_branch .LBB0_49
.LBB0_44:
	s_mov_b64 s[6:7], -1
	s_mov_b64 s[14:15], 0
                                        ; implicit-def: $sgpr2_sgpr3
	s_cbranch_execz .LBB0_38
	s_branch .LBB0_51
.LBB0_45:
	s_mov_b64 s[34:35], -1
	s_mov_b64 s[30:31], 16
	s_and_b64 vcc, exec, s[28:29]
	s_cbranch_vccz .LBB0_20
.LBB0_46:
	s_cmp_eq_u64 s[12:13], 2
	s_mov_b64 s[28:29], 0
	s_mov_b64 s[30:31], 8
	s_cselect_b64 s[34:35], -1, 0
	s_andn2_b64 vcc, exec, s[34:35]
	s_cbranch_vccz .LBB0_21
	s_branch .LBB0_22
.LBB0_47:
	s_mov_b64 s[6:7], -1
	s_mov_b64 s[34:35], 0
                                        ; implicit-def: $sgpr30_sgpr31
	s_cbranch_execz .LBB0_26
	s_branch .LBB0_53
.LBB0_48:
	s_mov_b64 s[20:21], -1
	s_mov_b64 s[6:7], 16
	s_and_b64 vcc, exec, s[4:5]
	s_cbranch_vccz .LBB0_33
.LBB0_49:
	s_cmp_eq_u64 s[12:13], 2
	s_mov_b64 s[4:5], 0
	s_mov_b64 s[6:7], 8
	s_cselect_b64 s[20:21], -1, 0
	v_lshl_add_u64 v[14:15], s[18:19], 0, v[14:15]
	s_andn2_b64 vcc, exec, s[20:21]
	v_mov_b64_e32 v[18:19], s[4:5]
	s_cbranch_vccz .LBB0_34
	s_branch .LBB0_35
.LBB0_50:
	s_mov_b64 s[14:15], -1
	s_mov_b64 s[2:3], 16
	s_and_b64 vcc, exec, s[6:7]
	s_cbranch_vccz .LBB0_38
.LBB0_51:
	s_cmp_eq_u64 s[12:13], 2
	s_mov_b64 s[6:7], 0
	s_mov_b64 s[2:3], 8
	s_cselect_b64 s[14:15], -1, 0
	s_andn2_b64 vcc, exec, s[14:15]
	v_mov_b64_e32 v[0:1], s[6:7]
	s_cbranch_vccz .LBB0_39
	s_branch .LBB0_40
.LBB0_52:
	s_mov_b64 s[34:35], -1
	s_mov_b64 s[30:31], 16
	s_and_b64 vcc, exec, s[6:7]
	s_cbranch_vccz .LBB0_26
.LBB0_53:
	s_cmp_eq_u64 s[12:13], 2
	s_mov_b64 s[6:7], 0
	s_mov_b64 s[30:31], 8
	s_cselect_b64 s[34:35], -1, 0
	s_andn2_b64 vcc, exec, s[34:35]
	s_cbranch_vccz .LBB0_27
	s_branch .LBB0_28
	.section	.rodata,"a",@progbits
	.p2align	6, 0x0
	.amdhsa_kernel r2c_even_post_transpose_tile16x16_dp_CI_CI_grid1D
		.amdhsa_group_segment_fixed_size 8192
		.amdhsa_private_segment_fixed_size 0
		.amdhsa_kernarg_size 120
		.amdhsa_user_sgpr_count 2
		.amdhsa_user_sgpr_dispatch_ptr 0
		.amdhsa_user_sgpr_queue_ptr 0
		.amdhsa_user_sgpr_kernarg_segment_ptr 1
		.amdhsa_user_sgpr_dispatch_id 0
		.amdhsa_user_sgpr_kernarg_preload_length 0
		.amdhsa_user_sgpr_kernarg_preload_offset 0
		.amdhsa_user_sgpr_private_segment_size 0
		.amdhsa_uses_dynamic_stack 0
		.amdhsa_enable_private_segment 0
		.amdhsa_system_sgpr_workgroup_id_x 1
		.amdhsa_system_sgpr_workgroup_id_y 0
		.amdhsa_system_sgpr_workgroup_id_z 0
		.amdhsa_system_sgpr_workgroup_info 0
		.amdhsa_system_vgpr_workitem_id 1
		.amdhsa_next_free_vgpr 26
		.amdhsa_next_free_sgpr 38
		.amdhsa_accum_offset 28
		.amdhsa_reserve_vcc 1
		.amdhsa_float_round_mode_32 0
		.amdhsa_float_round_mode_16_64 0
		.amdhsa_float_denorm_mode_32 3
		.amdhsa_float_denorm_mode_16_64 3
		.amdhsa_dx10_clamp 1
		.amdhsa_ieee_mode 1
		.amdhsa_fp16_overflow 0
		.amdhsa_tg_split 0
		.amdhsa_exception_fp_ieee_invalid_op 0
		.amdhsa_exception_fp_denorm_src 0
		.amdhsa_exception_fp_ieee_div_zero 0
		.amdhsa_exception_fp_ieee_overflow 0
		.amdhsa_exception_fp_ieee_underflow 0
		.amdhsa_exception_fp_ieee_inexact 0
		.amdhsa_exception_int_div_zero 0
	.end_amdhsa_kernel
	.text
.Lfunc_end0:
	.size	r2c_even_post_transpose_tile16x16_dp_CI_CI_grid1D, .Lfunc_end0-r2c_even_post_transpose_tile16x16_dp_CI_CI_grid1D
                                        ; -- End function
	.section	.AMDGPU.csdata,"",@progbits
; Kernel info:
; codeLenInByte = 3000
; NumSgprs: 44
; NumVgprs: 26
; NumAgprs: 0
; TotalNumVgprs: 26
; ScratchSize: 0
; MemoryBound: 1
; FloatMode: 240
; IeeeMode: 1
; LDSByteSize: 8192 bytes/workgroup (compile time only)
; SGPRBlocks: 5
; VGPRBlocks: 3
; NumSGPRsForWavesPerEU: 44
; NumVGPRsForWavesPerEU: 26
; AccumOffset: 28
; Occupancy: 8
; WaveLimiterHint : 1
; COMPUTE_PGM_RSRC2:SCRATCH_EN: 0
; COMPUTE_PGM_RSRC2:USER_SGPR: 2
; COMPUTE_PGM_RSRC2:TRAP_HANDLER: 0
; COMPUTE_PGM_RSRC2:TGID_X_EN: 1
; COMPUTE_PGM_RSRC2:TGID_Y_EN: 0
; COMPUTE_PGM_RSRC2:TGID_Z_EN: 0
; COMPUTE_PGM_RSRC2:TIDIG_COMP_CNT: 1
; COMPUTE_PGM_RSRC3_GFX90A:ACCUM_OFFSET: 6
; COMPUTE_PGM_RSRC3_GFX90A:TG_SPLIT: 0
	.text
	.p2alignl 6, 3212836864
	.fill 256, 4, 3212836864
	.type	__hip_cuid_379edb6f0c931417,@object ; @__hip_cuid_379edb6f0c931417
	.section	.bss,"aw",@nobits
	.globl	__hip_cuid_379edb6f0c931417
__hip_cuid_379edb6f0c931417:
	.byte	0                               ; 0x0
	.size	__hip_cuid_379edb6f0c931417, 1

	.ident	"AMD clang version 19.0.0git (https://github.com/RadeonOpenCompute/llvm-project roc-6.4.0 25133 c7fe45cf4b819c5991fe208aaa96edf142730f1d)"
	.section	".note.GNU-stack","",@progbits
	.addrsig
	.addrsig_sym __hip_cuid_379edb6f0c931417
	.amdgpu_metadata
---
amdhsa.kernels:
  - .agpr_count:     0
    .args:
      - .offset:         0
        .size:           8
        .value_kind:     by_value
      - .actual_access:  read_only
        .address_space:  global
        .offset:         8
        .size:           8
        .value_kind:     global_buffer
      - .offset:         16
        .size:           8
        .value_kind:     by_value
      - .actual_access:  write_only
        .address_space:  global
        .offset:         24
        .size:           8
        .value_kind:     global_buffer
      - .offset:         32
        .size:           8
        .value_kind:     by_value
      - .actual_access:  read_only
        .address_space:  global
        .offset:         40
        .size:           8
        .value_kind:     global_buffer
      - .actual_access:  read_only
        .address_space:  global
        .offset:         48
        .size:           8
        .value_kind:     global_buffer
      - .actual_access:  read_only
        .address_space:  global
        .offset:         56
        .size:           8
        .value_kind:     global_buffer
      - .actual_access:  read_only
        .address_space:  global
        .offset:         64
        .size:           8
        .value_kind:     global_buffer
      - .actual_access:  read_only
        .address_space:  global
        .offset:         72
        .size:           8
        .value_kind:     global_buffer
      - .actual_access:  read_only
        .address_space:  global
        .offset:         80
        .size:           8
        .value_kind:     global_buffer
      - .offset:         88
        .size:           4
        .value_kind:     by_value
      - .actual_access:  read_only
        .address_space:  global
        .offset:         96
        .size:           8
        .value_kind:     global_buffer
      - .actual_access:  read_only
        .address_space:  global
        .offset:         104
        .size:           8
        .value_kind:     global_buffer
      - .offset:         112
        .size:           4
        .value_kind:     by_value
      - .offset:         116
        .size:           4
        .value_kind:     by_value
    .group_segment_fixed_size: 8192
    .kernarg_segment_align: 8
    .kernarg_segment_size: 120
    .language:       OpenCL C
    .language_version:
      - 2
      - 0
    .max_flat_workgroup_size: 256
    .name:           r2c_even_post_transpose_tile16x16_dp_CI_CI_grid1D
    .private_segment_fixed_size: 0
    .sgpr_count:     44
    .sgpr_spill_count: 0
    .symbol:         r2c_even_post_transpose_tile16x16_dp_CI_CI_grid1D.kd
    .uniform_work_group_size: 1
    .uses_dynamic_stack: false
    .vgpr_count:     26
    .vgpr_spill_count: 0
    .wavefront_size: 64
amdhsa.target:   amdgcn-amd-amdhsa--gfx950
amdhsa.version:
  - 1
  - 2
...

	.end_amdgpu_metadata
